;; amdgpu-corpus repo=ROCm/rocFFT kind=compiled arch=gfx906 opt=O3
	.text
	.amdgcn_target "amdgcn-amd-amdhsa--gfx906"
	.amdhsa_code_object_version 6
	.protected	fft_rtc_back_len26_factors_13_2_wgs_64_tpt_2_halfLds_dp_ip_CI_unitstride_sbrr_dirReg ; -- Begin function fft_rtc_back_len26_factors_13_2_wgs_64_tpt_2_halfLds_dp_ip_CI_unitstride_sbrr_dirReg
	.globl	fft_rtc_back_len26_factors_13_2_wgs_64_tpt_2_halfLds_dp_ip_CI_unitstride_sbrr_dirReg
	.p2align	8
	.type	fft_rtc_back_len26_factors_13_2_wgs_64_tpt_2_halfLds_dp_ip_CI_unitstride_sbrr_dirReg,@function
fft_rtc_back_len26_factors_13_2_wgs_64_tpt_2_halfLds_dp_ip_CI_unitstride_sbrr_dirReg: ; @fft_rtc_back_len26_factors_13_2_wgs_64_tpt_2_halfLds_dp_ip_CI_unitstride_sbrr_dirReg
; %bb.0:
	s_load_dwordx2 s[2:3], s[4:5], 0x50
	s_load_dwordx4 s[8:11], s[4:5], 0x0
	s_load_dwordx2 s[12:13], s[4:5], 0x18
	v_lshrrev_b32_e32 v48, 1, v0
	v_mov_b32_e32 v3, 0
	v_mov_b32_e32 v1, 0
	s_waitcnt lgkmcnt(0)
	v_cmp_lt_u64_e64 s[0:1], s[10:11], 2
	v_lshl_or_b32 v5, s6, 5, v48
	v_mov_b32_e32 v6, v3
	s_and_b64 vcc, exec, s[0:1]
	v_mov_b32_e32 v2, 0
	s_cbranch_vccnz .LBB0_8
; %bb.1:
	s_load_dwordx2 s[0:1], s[4:5], 0x10
	s_add_u32 s6, s12, 8
	s_addc_u32 s7, s13, 0
	v_mov_b32_e32 v1, 0
	v_mov_b32_e32 v2, 0
	s_waitcnt lgkmcnt(0)
	s_add_u32 s14, s0, 8
	s_addc_u32 s15, s1, 0
	s_mov_b64 s[16:17], 1
.LBB0_2:                                ; =>This Inner Loop Header: Depth=1
	s_load_dwordx2 s[18:19], s[14:15], 0x0
                                        ; implicit-def: $vgpr7_vgpr8
	s_waitcnt lgkmcnt(0)
	v_or_b32_e32 v4, s19, v6
	v_cmp_ne_u64_e32 vcc, 0, v[3:4]
	s_and_saveexec_b64 s[0:1], vcc
	s_xor_b64 s[20:21], exec, s[0:1]
	s_cbranch_execz .LBB0_4
; %bb.3:                                ;   in Loop: Header=BB0_2 Depth=1
	v_cvt_f32_u32_e32 v4, s18
	v_cvt_f32_u32_e32 v7, s19
	s_sub_u32 s0, 0, s18
	s_subb_u32 s1, 0, s19
	v_mac_f32_e32 v4, 0x4f800000, v7
	v_rcp_f32_e32 v4, v4
	v_mul_f32_e32 v4, 0x5f7ffffc, v4
	v_mul_f32_e32 v7, 0x2f800000, v4
	v_trunc_f32_e32 v7, v7
	v_mac_f32_e32 v4, 0xcf800000, v7
	v_cvt_u32_f32_e32 v7, v7
	v_cvt_u32_f32_e32 v4, v4
	v_mul_lo_u32 v8, s0, v7
	v_mul_hi_u32 v9, s0, v4
	v_mul_lo_u32 v11, s1, v4
	v_mul_lo_u32 v10, s0, v4
	v_add_u32_e32 v8, v9, v8
	v_add_u32_e32 v8, v8, v11
	v_mul_hi_u32 v9, v4, v10
	v_mul_lo_u32 v11, v4, v8
	v_mul_hi_u32 v13, v4, v8
	v_mul_hi_u32 v12, v7, v10
	v_mul_lo_u32 v10, v7, v10
	v_mul_hi_u32 v14, v7, v8
	v_add_co_u32_e32 v9, vcc, v9, v11
	v_addc_co_u32_e32 v11, vcc, 0, v13, vcc
	v_mul_lo_u32 v8, v7, v8
	v_add_co_u32_e32 v9, vcc, v9, v10
	v_addc_co_u32_e32 v9, vcc, v11, v12, vcc
	v_addc_co_u32_e32 v10, vcc, 0, v14, vcc
	v_add_co_u32_e32 v8, vcc, v9, v8
	v_addc_co_u32_e32 v9, vcc, 0, v10, vcc
	v_add_co_u32_e32 v4, vcc, v4, v8
	v_addc_co_u32_e32 v7, vcc, v7, v9, vcc
	v_mul_lo_u32 v8, s0, v7
	v_mul_hi_u32 v9, s0, v4
	v_mul_lo_u32 v10, s1, v4
	v_mul_lo_u32 v11, s0, v4
	v_add_u32_e32 v8, v9, v8
	v_add_u32_e32 v8, v8, v10
	v_mul_lo_u32 v12, v4, v8
	v_mul_hi_u32 v13, v4, v11
	v_mul_hi_u32 v14, v4, v8
	;; [unrolled: 1-line block ×3, first 2 shown]
	v_mul_lo_u32 v11, v7, v11
	v_mul_hi_u32 v9, v7, v8
	v_add_co_u32_e32 v12, vcc, v13, v12
	v_addc_co_u32_e32 v13, vcc, 0, v14, vcc
	v_mul_lo_u32 v8, v7, v8
	v_add_co_u32_e32 v11, vcc, v12, v11
	v_addc_co_u32_e32 v10, vcc, v13, v10, vcc
	v_addc_co_u32_e32 v9, vcc, 0, v9, vcc
	v_add_co_u32_e32 v8, vcc, v10, v8
	v_addc_co_u32_e32 v9, vcc, 0, v9, vcc
	v_add_co_u32_e32 v4, vcc, v4, v8
	v_addc_co_u32_e32 v9, vcc, v7, v9, vcc
	v_mad_u64_u32 v[7:8], s[0:1], v5, v9, 0
	v_mul_hi_u32 v10, v5, v4
	v_add_co_u32_e32 v11, vcc, v10, v7
	v_addc_co_u32_e32 v12, vcc, 0, v8, vcc
	v_mad_u64_u32 v[7:8], s[0:1], v6, v4, 0
	v_mad_u64_u32 v[9:10], s[0:1], v6, v9, 0
	v_add_co_u32_e32 v4, vcc, v11, v7
	v_addc_co_u32_e32 v4, vcc, v12, v8, vcc
	v_addc_co_u32_e32 v7, vcc, 0, v10, vcc
	v_add_co_u32_e32 v4, vcc, v4, v9
	v_addc_co_u32_e32 v9, vcc, 0, v7, vcc
	v_mul_lo_u32 v10, s19, v4
	v_mul_lo_u32 v11, s18, v9
	v_mad_u64_u32 v[7:8], s[0:1], s18, v4, 0
	v_add3_u32 v8, v8, v11, v10
	v_sub_u32_e32 v10, v6, v8
	v_mov_b32_e32 v11, s19
	v_sub_co_u32_e32 v7, vcc, v5, v7
	v_subb_co_u32_e64 v10, s[0:1], v10, v11, vcc
	v_subrev_co_u32_e64 v11, s[0:1], s18, v7
	v_subbrev_co_u32_e64 v10, s[0:1], 0, v10, s[0:1]
	v_cmp_le_u32_e64 s[0:1], s19, v10
	v_cndmask_b32_e64 v12, 0, -1, s[0:1]
	v_cmp_le_u32_e64 s[0:1], s18, v11
	v_cndmask_b32_e64 v11, 0, -1, s[0:1]
	v_cmp_eq_u32_e64 s[0:1], s19, v10
	v_cndmask_b32_e64 v10, v12, v11, s[0:1]
	v_add_co_u32_e64 v11, s[0:1], 2, v4
	v_addc_co_u32_e64 v12, s[0:1], 0, v9, s[0:1]
	v_add_co_u32_e64 v13, s[0:1], 1, v4
	v_addc_co_u32_e64 v14, s[0:1], 0, v9, s[0:1]
	v_subb_co_u32_e32 v8, vcc, v6, v8, vcc
	v_cmp_ne_u32_e64 s[0:1], 0, v10
	v_cmp_le_u32_e32 vcc, s19, v8
	v_cndmask_b32_e64 v10, v14, v12, s[0:1]
	v_cndmask_b32_e64 v12, 0, -1, vcc
	v_cmp_le_u32_e32 vcc, s18, v7
	v_cndmask_b32_e64 v7, 0, -1, vcc
	v_cmp_eq_u32_e32 vcc, s19, v8
	v_cndmask_b32_e32 v7, v12, v7, vcc
	v_cmp_ne_u32_e32 vcc, 0, v7
	v_cndmask_b32_e64 v7, v13, v11, s[0:1]
	v_cndmask_b32_e32 v8, v9, v10, vcc
	v_cndmask_b32_e32 v7, v4, v7, vcc
.LBB0_4:                                ;   in Loop: Header=BB0_2 Depth=1
	s_andn2_saveexec_b64 s[0:1], s[20:21]
	s_cbranch_execz .LBB0_6
; %bb.5:                                ;   in Loop: Header=BB0_2 Depth=1
	v_cvt_f32_u32_e32 v4, s18
	s_sub_i32 s20, 0, s18
	v_rcp_iflag_f32_e32 v4, v4
	v_mul_f32_e32 v4, 0x4f7ffffe, v4
	v_cvt_u32_f32_e32 v4, v4
	v_mul_lo_u32 v7, s20, v4
	v_mul_hi_u32 v7, v4, v7
	v_add_u32_e32 v4, v4, v7
	v_mul_hi_u32 v4, v5, v4
	v_mul_lo_u32 v7, v4, s18
	v_add_u32_e32 v8, 1, v4
	v_sub_u32_e32 v7, v5, v7
	v_subrev_u32_e32 v9, s18, v7
	v_cmp_le_u32_e32 vcc, s18, v7
	v_cndmask_b32_e32 v7, v7, v9, vcc
	v_cndmask_b32_e32 v4, v4, v8, vcc
	v_add_u32_e32 v8, 1, v4
	v_cmp_le_u32_e32 vcc, s18, v7
	v_cndmask_b32_e32 v7, v4, v8, vcc
	v_mov_b32_e32 v8, v3
.LBB0_6:                                ;   in Loop: Header=BB0_2 Depth=1
	s_or_b64 exec, exec, s[0:1]
	v_mul_lo_u32 v4, v8, s18
	v_mul_lo_u32 v11, v7, s19
	v_mad_u64_u32 v[9:10], s[0:1], v7, s18, 0
	s_load_dwordx2 s[0:1], s[6:7], 0x0
	s_add_u32 s16, s16, 1
	v_add3_u32 v4, v10, v11, v4
	v_sub_co_u32_e32 v5, vcc, v5, v9
	v_subb_co_u32_e32 v4, vcc, v6, v4, vcc
	s_waitcnt lgkmcnt(0)
	v_mul_lo_u32 v4, s0, v4
	v_mul_lo_u32 v6, s1, v5
	v_mad_u64_u32 v[1:2], s[0:1], s0, v5, v[1:2]
	s_addc_u32 s17, s17, 0
	s_add_u32 s6, s6, 8
	v_add3_u32 v2, v6, v2, v4
	v_mov_b32_e32 v4, s10
	v_mov_b32_e32 v5, s11
	s_addc_u32 s7, s7, 0
	v_cmp_ge_u64_e32 vcc, s[16:17], v[4:5]
	s_add_u32 s14, s14, 8
	s_addc_u32 s15, s15, 0
	s_cbranch_vccnz .LBB0_9
; %bb.7:                                ;   in Loop: Header=BB0_2 Depth=1
	v_mov_b32_e32 v5, v7
	v_mov_b32_e32 v6, v8
	s_branch .LBB0_2
.LBB0_8:
	v_mov_b32_e32 v8, v6
	v_mov_b32_e32 v7, v5
.LBB0_9:
	s_lshl_b64 s[0:1], s[10:11], 3
	s_add_u32 s0, s12, s0
	s_addc_u32 s1, s13, s1
	s_load_dwordx2 s[6:7], s[0:1], 0x0
	s_load_dwordx2 s[10:11], s[4:5], 0x20
	v_and_b32_e32 v50, 1, v0
	v_or_b32_e32 v70, 2, v50
	v_or_b32_e32 v73, 4, v50
	s_waitcnt lgkmcnt(0)
	v_mul_lo_u32 v3, s6, v8
	v_mul_lo_u32 v4, s7, v7
	v_mad_u64_u32 v[1:2], s[0:1], s6, v7, v[1:2]
	v_cmp_gt_u64_e32 vcc, s[10:11], v[7:8]
	v_cmp_le_u64_e64 s[0:1], s[10:11], v[7:8]
	v_add3_u32 v2, v4, v2, v3
	v_or_b32_e32 v74, 6, v50
	v_or_b32_e32 v75, 8, v50
	;; [unrolled: 1-line block ×3, first 2 shown]
	s_and_saveexec_b64 s[4:5], s[0:1]
	s_xor_b64 s[0:1], exec, s[4:5]
; %bb.10:
	v_or_b32_e32 v70, 2, v50
	v_or_b32_e32 v73, 4, v50
	;; [unrolled: 1-line block ×5, first 2 shown]
; %bb.11:
	s_or_saveexec_b64 s[4:5], s[0:1]
	v_lshlrev_b64 v[68:69], 4, v[1:2]
	v_lshlrev_b32_e32 v89, 4, v50
                                        ; implicit-def: $vgpr54_vgpr55
                                        ; implicit-def: $vgpr46_vgpr47
                                        ; implicit-def: $vgpr38_vgpr39
                                        ; implicit-def: $vgpr22_vgpr23
                                        ; implicit-def: $vgpr14_vgpr15
                                        ; implicit-def: $vgpr6_vgpr7
                                        ; implicit-def: $vgpr2_vgpr3
                                        ; implicit-def: $vgpr10_vgpr11
                                        ; implicit-def: $vgpr18_vgpr19
                                        ; implicit-def: $vgpr26_vgpr27
                                        ; implicit-def: $vgpr30_vgpr31
                                        ; implicit-def: $vgpr42_vgpr43
                                        ; implicit-def: $vgpr34_vgpr35
	s_xor_b64 exec, exec, s[4:5]
	s_cbranch_execz .LBB0_13
; %bb.12:
	v_mov_b32_e32 v0, s3
	v_add_co_u32_e64 v1, s[0:1], s2, v68
	v_addc_co_u32_e64 v0, s[0:1], v0, v69, s[0:1]
	v_add_co_u32_e64 v56, s[0:1], v1, v89
	v_addc_co_u32_e64 v57, s[0:1], 0, v0, s[0:1]
	global_load_dwordx4 v[32:35], v[56:57], off
	global_load_dwordx4 v[40:43], v[56:57], off offset:32
	global_load_dwordx4 v[28:31], v[56:57], off offset:64
	;; [unrolled: 1-line block ×12, first 2 shown]
.LBB0_13:
	s_or_b64 exec, exec, s[4:5]
	s_waitcnt vmcnt(11)
	v_add_f64 v[56:57], v[40:41], v[32:33]
	s_waitcnt vmcnt(0)
	v_add_f64 v[58:59], v[42:43], -v[54:55]
	s_mov_b32 s36, 0x4267c47c
	s_mov_b32 s24, 0x42a4c3d2
	;; [unrolled: 1-line block ×4, first 2 shown]
	v_mul_u32_u24_e32 v51, 26, v48
	v_add_f64 v[48:49], v[52:53], v[40:41]
	v_add_f64 v[56:57], v[28:29], v[56:57]
	v_add_f64 v[62:63], v[30:31], -v[46:47]
	v_mul_f64 v[64:65], v[58:59], s[36:37]
	v_mul_f64 v[66:67], v[58:59], s[24:25]
	s_mov_b32 s6, 0xe00740e9
	s_mov_b32 s10, 0x1ea71119
	;; [unrolled: 1-line block ×4, first 2 shown]
	v_add_f64 v[56:57], v[24:25], v[56:57]
	s_mov_b32 s16, 0x24c2f84
	s_mov_b32 s22, 0x4bc48dbf
	;; [unrolled: 1-line block ×7, first 2 shown]
	v_add_f64 v[56:57], v[16:17], v[56:57]
	s_mov_b32 s23, 0xbfcea1e5
	v_add_f64 v[60:61], v[44:45], v[28:29]
	v_mul_f64 v[76:77], v[58:59], s[28:29]
	v_mul_f64 v[78:79], v[58:59], s[14:15]
	;; [unrolled: 1-line block ×5, first 2 shown]
	v_add_f64 v[56:57], v[8:9], v[56:57]
	v_mul_f64 v[84:85], v[62:63], s[14:15]
	v_fma_f64 v[94:95], v[48:49], s[6:7], v[64:65]
	v_fma_f64 v[64:65], v[48:49], s[6:7], -v[64:65]
	v_fma_f64 v[96:97], v[48:49], s[10:11], v[66:67]
	v_fma_f64 v[66:67], v[48:49], s[10:11], -v[66:67]
	s_mov_b32 s4, 0xebaa3ed8
	s_mov_b32 s12, 0xb2365da1
	v_add_f64 v[56:57], v[0:1], v[56:57]
	s_mov_b32 s18, 0xd0032e0c
	s_mov_b32 s20, 0x93053d00
	;; [unrolled: 1-line block ×7, first 2 shown]
	v_add_f64 v[56:57], v[4:5], v[56:57]
	s_mov_b32 s27, 0x3fefc445
	s_mov_b32 s34, s16
	;; [unrolled: 1-line block ×3, first 2 shown]
	v_mul_f64 v[86:87], v[62:63], s[22:23]
	v_mul_f64 v[90:91], v[62:63], s[34:35]
	;; [unrolled: 1-line block ×3, first 2 shown]
	v_fma_f64 v[98:99], v[48:49], s[4:5], v[76:77]
	v_add_f64 v[56:57], v[12:13], v[56:57]
	v_fma_f64 v[76:77], v[48:49], s[4:5], -v[76:77]
	v_fma_f64 v[100:101], v[48:49], s[12:13], v[78:79]
	v_fma_f64 v[78:79], v[48:49], s[12:13], -v[78:79]
	v_fma_f64 v[102:103], v[48:49], s[18:19], v[80:81]
	;; [unrolled: 2-line block ×3, first 2 shown]
	v_fma_f64 v[48:49], v[48:49], s[20:21], -v[58:59]
	v_add_f64 v[56:57], v[20:21], v[56:57]
	v_fma_f64 v[58:59], v[60:61], s[10:11], v[82:83]
	v_fma_f64 v[82:83], v[60:61], s[10:11], -v[82:83]
	v_fma_f64 v[106:107], v[60:61], s[12:13], v[84:85]
	v_fma_f64 v[84:85], v[60:61], s[12:13], -v[84:85]
	v_add_f64 v[94:95], v[32:33], v[94:95]
	v_add_f64 v[64:65], v[32:33], v[64:65]
	;; [unrolled: 1-line block ×5, first 2 shown]
	s_mov_b32 s31, 0x3fddbe06
	s_mov_b32 s30, s36
	v_fma_f64 v[108:109], v[60:61], s[20:21], v[86:87]
	v_add_f64 v[98:99], v[32:33], v[98:99]
	v_add_f64 v[78:79], v[32:33], v[78:79]
	;; [unrolled: 1-line block ×8, first 2 shown]
	v_fma_f64 v[84:85], v[60:61], s[20:21], -v[86:87]
	v_fma_f64 v[86:87], v[60:61], s[18:19], v[90:91]
	v_add_f64 v[94:95], v[26:27], -v[38:39]
	v_fma_f64 v[90:91], v[60:61], s[18:19], -v[90:91]
	v_fma_f64 v[96:97], v[60:61], s[4:5], v[92:93]
	v_fma_f64 v[92:93], v[60:61], s[4:5], -v[92:93]
	v_mul_f64 v[62:63], v[62:63], s[30:31]
	v_add_f64 v[76:77], v[32:33], v[76:77]
	v_add_f64 v[100:101], v[32:33], v[100:101]
	;; [unrolled: 1-line block ×8, first 2 shown]
	v_mul_f64 v[106:107], v[94:95], s[28:29]
	v_add_f64 v[78:79], v[90:91], v[78:79]
	v_add_f64 v[80:81], v[92:93], v[80:81]
	v_fma_f64 v[90:91], v[60:61], s[6:7], v[62:63]
	v_fma_f64 v[60:61], v[60:61], s[6:7], -v[62:63]
	v_mul_f64 v[92:93], v[94:95], s[22:23]
	s_mov_b32 s43, 0x3fedeba7
	s_mov_b32 s42, s14
	v_add_f64 v[76:77], v[84:85], v[76:77]
	v_add_f64 v[84:85], v[86:87], v[100:101]
	;; [unrolled: 1-line block ×3, first 2 shown]
	v_fma_f64 v[62:63], v[98:99], s[4:5], v[106:107]
	v_fma_f64 v[96:97], v[98:99], s[4:5], -v[106:107]
	v_mul_f64 v[100:101], v[94:95], s[42:43]
	v_add_f64 v[48:49], v[60:61], v[48:49]
	v_mul_f64 v[60:61], v[94:95], s[30:31]
	v_fma_f64 v[102:103], v[98:99], s[20:21], v[92:93]
	v_fma_f64 v[92:93], v[98:99], s[20:21], -v[92:93]
	v_add_f64 v[90:91], v[90:91], v[104:105]
	v_add_f64 v[58:59], v[62:63], v[58:59]
	;; [unrolled: 1-line block ×3, first 2 shown]
	v_fma_f64 v[64:65], v[98:99], s[12:13], v[100:101]
	v_fma_f64 v[96:97], v[98:99], s[12:13], -v[100:101]
	v_mul_f64 v[100:101], v[94:95], s[24:25]
	v_fma_f64 v[104:105], v[98:99], s[6:7], v[60:61]
	v_add_f64 v[66:67], v[92:93], v[66:67]
	v_add_f64 v[92:93], v[18:19], -v[22:23]
	v_fma_f64 v[60:61], v[98:99], s[6:7], -v[60:61]
	v_mul_f64 v[94:95], v[94:95], s[16:17]
	v_add_f64 v[56:57], v[64:65], v[56:57]
	v_add_f64 v[64:65], v[96:97], v[76:77]
	v_fma_f64 v[76:77], v[98:99], s[10:11], v[100:101]
	v_add_f64 v[96:97], v[20:21], v[16:17]
	v_add_f64 v[82:83], v[102:103], v[82:83]
	v_add_f64 v[84:85], v[104:105], v[84:85]
	v_add_f64 v[60:61], v[60:61], v[78:79]
	v_fma_f64 v[78:79], v[98:99], s[10:11], -v[100:101]
	v_mul_f64 v[100:101], v[92:93], s[34:35]
	v_mul_f64 v[102:103], v[92:93], s[14:15]
	v_fma_f64 v[104:105], v[98:99], s[18:19], v[94:95]
	v_fma_f64 v[94:95], v[98:99], s[18:19], -v[94:95]
	v_add_f64 v[76:77], v[76:77], v[86:87]
	v_mul_f64 v[86:87], v[92:93], s[30:31]
	s_mov_b32 s39, 0x3fcea1e5
	v_add_f64 v[78:79], v[78:79], v[80:81]
	v_fma_f64 v[80:81], v[96:97], s[18:19], v[100:101]
	v_fma_f64 v[100:101], v[96:97], s[18:19], -v[100:101]
	v_fma_f64 v[98:99], v[96:97], s[12:13], v[102:103]
	v_add_f64 v[48:49], v[94:95], v[48:49]
	v_mul_f64 v[94:95], v[92:93], s[28:29]
	s_mov_b32 s38, s22
	v_fma_f64 v[102:103], v[96:97], s[12:13], -v[102:103]
	v_fma_f64 v[106:107], v[96:97], s[6:7], v[86:87]
	v_add_f64 v[80:81], v[80:81], v[82:83]
	v_add_f64 v[66:67], v[100:101], v[66:67]
	v_fma_f64 v[82:83], v[96:97], s[6:7], -v[86:87]
	v_mul_f64 v[86:87], v[92:93], s[38:39]
	v_add_f64 v[100:101], v[10:11], -v[14:15]
	s_mov_b32 s41, 0x3fea55e2
	s_mov_b32 s40, s24
	v_add_f64 v[58:59], v[98:99], v[58:59]
	v_fma_f64 v[98:99], v[96:97], s[4:5], v[94:95]
	v_fma_f64 v[94:95], v[96:97], s[4:5], -v[94:95]
	v_mul_f64 v[92:93], v[92:93], s[40:41]
	v_add_f64 v[90:91], v[104:105], v[90:91]
	v_add_f64 v[62:63], v[102:103], v[62:63]
	;; [unrolled: 1-line block ×3, first 2 shown]
	v_fma_f64 v[82:83], v[96:97], s[20:21], v[86:87]
	v_add_f64 v[102:103], v[12:13], v[8:9]
	v_mul_f64 v[104:105], v[100:101], s[16:17]
	v_add_f64 v[84:85], v[98:99], v[84:85]
	v_fma_f64 v[86:87], v[96:97], s[20:21], -v[86:87]
	v_add_f64 v[60:61], v[94:95], v[60:61]
	v_fma_f64 v[94:95], v[96:97], s[10:11], v[92:93]
	v_mul_f64 v[98:99], v[100:101], s[26:27]
	v_fma_f64 v[92:93], v[96:97], s[10:11], -v[92:93]
	v_add_f64 v[76:77], v[82:83], v[76:77]
	v_fma_f64 v[82:83], v[102:103], s[18:19], v[104:105]
	v_mul_f64 v[96:97], v[100:101], s[24:25]
	v_add_f64 v[78:79], v[86:87], v[78:79]
	v_fma_f64 v[86:87], v[102:103], s[18:19], -v[104:105]
	v_add_f64 v[90:91], v[94:95], v[90:91]
	v_fma_f64 v[94:95], v[102:103], s[4:5], v[98:99]
	v_add_f64 v[48:49], v[92:93], v[48:49]
	v_fma_f64 v[92:93], v[102:103], s[4:5], -v[98:99]
	v_add_f64 v[56:57], v[106:107], v[56:57]
	v_add_f64 v[58:59], v[82:83], v[58:59]
	v_fma_f64 v[82:83], v[102:103], s[10:11], v[96:97]
	v_mul_f64 v[98:99], v[100:101], s[38:39]
	v_add_f64 v[62:63], v[86:87], v[62:63]
	v_fma_f64 v[86:87], v[102:103], s[10:11], -v[96:97]
	v_add_f64 v[80:81], v[94:95], v[80:81]
	v_mul_f64 v[94:95], v[100:101], s[30:31]
	v_add_f64 v[66:67], v[92:93], v[66:67]
	v_add_f64 v[92:93], v[2:3], -v[6:7]
	v_add_f64 v[56:57], v[82:83], v[56:57]
	v_fma_f64 v[82:83], v[102:103], s[20:21], v[98:99]
	v_mul_f64 v[96:97], v[100:101], s[14:15]
	v_add_f64 v[64:65], v[86:87], v[64:65]
	v_fma_f64 v[86:87], v[102:103], s[20:21], -v[98:99]
	v_fma_f64 v[98:99], v[102:103], s[6:7], v[94:95]
	v_add_f64 v[100:101], v[4:5], v[0:1]
	v_mul_f64 v[104:105], v[92:93], s[22:23]
	v_fma_f64 v[94:95], v[102:103], s[6:7], -v[94:95]
	v_add_f64 v[82:83], v[82:83], v[84:85]
	v_fma_f64 v[84:85], v[102:103], s[12:13], v[96:97]
	v_fma_f64 v[96:97], v[102:103], s[12:13], -v[96:97]
	v_mul_f64 v[102:103], v[92:93], s[30:31]
	v_add_f64 v[60:61], v[86:87], v[60:61]
	v_add_f64 v[76:77], v[98:99], v[76:77]
	v_fma_f64 v[86:87], v[100:101], s[20:21], v[104:105]
	v_add_f64 v[78:79], v[94:95], v[78:79]
	v_fma_f64 v[94:95], v[100:101], s[20:21], -v[104:105]
	v_add_f64 v[84:85], v[84:85], v[90:91]
	v_add_f64 v[90:91], v[96:97], v[48:49]
	v_fma_f64 v[96:97], v[100:101], s[6:7], v[102:103]
	v_fma_f64 v[98:99], v[100:101], s[6:7], -v[102:103]
	v_mul_f64 v[102:103], v[92:93], s[16:17]
	v_add_f64 v[58:59], v[86:87], v[58:59]
	v_mul_f64 v[86:87], v[92:93], s[40:41]
	v_add_f64 v[48:49], v[94:95], v[62:63]
	v_mul_f64 v[62:63], v[92:93], s[14:15]
	v_mul_f64 v[92:93], v[92:93], s[26:27]
	v_add_f64 v[80:81], v[96:97], v[80:81]
	v_add_f64 v[66:67], v[98:99], v[66:67]
	v_fma_f64 v[94:95], v[100:101], s[18:19], v[102:103]
	v_fma_f64 v[96:97], v[100:101], s[18:19], -v[102:103]
	v_fma_f64 v[98:99], v[100:101], s[10:11], v[86:87]
	v_fma_f64 v[86:87], v[100:101], s[10:11], -v[86:87]
	v_fma_f64 v[102:103], v[100:101], s[12:13], v[62:63]
	v_fma_f64 v[104:105], v[100:101], s[4:5], v[92:93]
	v_fma_f64 v[92:93], v[100:101], s[4:5], -v[92:93]
	v_fma_f64 v[62:63], v[100:101], s[12:13], -v[62:63]
	v_add_f64 v[56:57], v[94:95], v[56:57]
	v_add_f64 v[64:65], v[96:97], v[64:65]
	;; [unrolled: 1-line block ×8, first 2 shown]
	v_lshl_add_u32 v72, v51, 3, 0
	s_movk_i32 s0, 0x68
	v_mad_u32_u24 v76, v50, s0, v72
	s_movk_i32 s0, 0xffa0
	ds_write2_b64 v76, v[32:33], v[58:59] offset1:1
	ds_write2_b64 v76, v[80:81], v[56:57] offset0:2 offset1:3
	ds_write2_b64 v76, v[82:83], v[86:87] offset0:4 offset1:5
	;; [unrolled: 1-line block ×5, first 2 shown]
	ds_write_b64 v76, v[48:49] offset:96
	v_lshl_add_u32 v91, v50, 3, v72
	v_mad_i32_i24 v90, v50, s0, v76
	s_waitcnt lgkmcnt(0)
	; wave barrier
	s_waitcnt lgkmcnt(0)
	ds_read2_b64 v[56:59], v90 offset0:13 offset1:15
	ds_read2_b64 v[60:63], v90 offset0:17 offset1:19
	v_lshl_add_u32 v92, v70, 3, v72
	v_lshl_add_u32 v93, v73, 3, v72
	;; [unrolled: 1-line block ×3, first 2 shown]
	ds_read_b64 v[32:33], v91
	ds_read_b64 v[77:78], v92
	;; [unrolled: 1-line block ×4, first 2 shown]
	v_lshl_add_u32 v96, v75, 3, v72
	ds_read2_b64 v[64:67], v90 offset0:21 offset1:23
	v_lshl_add_u32 v95, v71, 3, v72
	ds_read_b64 v[83:84], v96
	ds_read_b64 v[85:86], v95
	v_cmp_eq_u32_e64 s[0:1], 0, v50
	s_and_saveexec_b64 s[44:45], s[0:1]
	s_cbranch_execz .LBB0_15
; %bb.14:
	ds_read2_b64 v[48:51], v72 offset0:12 offset1:25
.LBB0_15:
	s_or_b64 exec, exec, s[44:45]
	v_add_f64 v[87:88], v[42:43], v[34:35]
	v_add_f64 v[40:41], v[40:41], -v[52:53]
	v_add_f64 v[42:43], v[54:55], v[42:43]
	v_add_f64 v[28:29], v[28:29], -v[44:45]
	v_add_f64 v[24:25], v[24:25], -v[36:37]
	;; [unrolled: 1-line block ×5, first 2 shown]
	v_add_f64 v[87:88], v[30:31], v[87:88]
	v_mul_f64 v[52:53], v[40:41], s[36:37]
	v_mul_f64 v[97:98], v[40:41], s[24:25]
	;; [unrolled: 1-line block ×6, first 2 shown]
	v_add_f64 v[30:31], v[46:47], v[30:31]
	v_add_f64 v[87:88], v[26:27], v[87:88]
	v_mul_f64 v[44:45], v[28:29], s[14:15]
	v_fma_f64 v[99:100], v[42:43], s[10:11], -v[97:98]
	v_fma_f64 v[97:98], v[42:43], s[10:11], v[97:98]
	v_fma_f64 v[103:104], v[42:43], s[4:5], -v[101:102]
	v_fma_f64 v[101:102], v[42:43], s[4:5], v[101:102]
	v_fma_f64 v[107:108], v[42:43], s[12:13], -v[105:106]
	v_fma_f64 v[105:106], v[42:43], s[12:13], v[105:106]
	v_add_f64 v[87:88], v[18:19], v[87:88]
	v_fma_f64 v[111:112], v[42:43], s[18:19], -v[109:110]
	v_fma_f64 v[109:110], v[42:43], s[18:19], v[109:110]
	v_fma_f64 v[113:114], v[42:43], s[20:21], -v[40:41]
	v_fma_f64 v[40:41], v[42:43], s[20:21], v[40:41]
	v_add_f64 v[99:100], v[34:35], v[99:100]
	v_add_f64 v[97:98], v[34:35], v[97:98]
	;; [unrolled: 1-line block ×12, first 2 shown]
	v_mul_f64 v[36:37], v[24:25], s[22:23]
	v_add_f64 v[18:19], v[22:23], v[18:19]
	v_mul_f64 v[20:21], v[16:17], s[14:15]
	v_add_f64 v[10:11], v[14:15], v[10:11]
	;; [unrolled: 2-line block ×4, first 2 shown]
	s_waitcnt lgkmcnt(0)
	; wave barrier
	s_waitcnt lgkmcnt(0)
	v_fma_f64 v[6:7], v[2:3], s[20:21], -v[0:1]
	v_add_f64 v[87:88], v[14:15], v[87:88]
	v_fma_f64 v[14:15], v[10:11], s[18:19], -v[12:13]
	v_fma_f64 v[12:13], v[10:11], s[18:19], v[12:13]
	v_fma_f64 v[0:1], v[2:3], s[20:21], v[0:1]
	v_add_f64 v[87:88], v[22:23], v[87:88]
	v_fma_f64 v[22:23], v[18:19], s[12:13], -v[20:21]
	v_fma_f64 v[20:21], v[18:19], s[12:13], v[20:21]
	v_add_f64 v[87:88], v[38:39], v[87:88]
	v_fma_f64 v[38:39], v[26:27], s[20:21], -v[36:37]
	;; [unrolled: 3-line block ×4, first 2 shown]
	v_fma_f64 v[52:53], v[42:43], s[6:7], v[52:53]
	v_add_f64 v[44:45], v[44:45], v[97:98]
	v_mul_f64 v[97:98], v[28:29], s[34:35]
	v_add_f64 v[46:47], v[46:47], v[99:100]
	v_add_f64 v[54:55], v[34:35], v[54:55]
	;; [unrolled: 1-line block ×4, first 2 shown]
	v_mul_f64 v[40:41], v[28:29], s[24:25]
	v_fma_f64 v[99:100], v[30:31], s[18:19], -v[97:98]
	v_fma_f64 v[97:98], v[30:31], s[18:19], v[97:98]
	v_add_f64 v[36:37], v[36:37], v[44:45]
	v_mul_f64 v[44:45], v[24:25], s[30:31]
	v_add_f64 v[38:39], v[38:39], v[46:47]
	v_fma_f64 v[42:43], v[30:31], s[10:11], -v[40:41]
	v_fma_f64 v[40:41], v[30:31], s[10:11], v[40:41]
	v_add_f64 v[97:98], v[97:98], v[105:106]
	v_add_f64 v[99:100], v[99:100], v[107:108]
	v_fma_f64 v[46:47], v[26:27], s[6:7], -v[44:45]
	v_fma_f64 v[44:45], v[26:27], s[6:7], v[44:45]
	v_add_f64 v[42:43], v[42:43], v[54:55]
	v_add_f64 v[40:41], v[40:41], v[52:53]
	v_mul_f64 v[52:53], v[28:29], s[22:23]
	v_add_f64 v[46:47], v[46:47], v[99:100]
	v_add_f64 v[44:45], v[44:45], v[97:98]
	v_fma_f64 v[54:55], v[30:31], s[20:21], -v[52:53]
	v_fma_f64 v[52:53], v[30:31], s[20:21], v[52:53]
	v_add_f64 v[54:55], v[54:55], v[103:104]
	v_add_f64 v[52:53], v[52:53], v[101:102]
	v_mul_f64 v[101:102], v[28:29], s[26:27]
	v_mul_f64 v[28:29], v[28:29], s[30:31]
	v_fma_f64 v[103:104], v[30:31], s[4:5], -v[101:102]
	v_fma_f64 v[101:102], v[30:31], s[4:5], v[101:102]
	v_fma_f64 v[105:106], v[30:31], s[6:7], -v[28:29]
	v_fma_f64 v[28:29], v[30:31], s[6:7], v[28:29]
	v_mul_f64 v[30:31], v[24:25], s[28:29]
	v_add_f64 v[103:104], v[103:104], v[111:112]
	v_add_f64 v[101:102], v[101:102], v[109:110]
	;; [unrolled: 1-line block ×4, first 2 shown]
	v_fma_f64 v[34:35], v[26:27], s[4:5], -v[30:31]
	v_fma_f64 v[30:31], v[26:27], s[4:5], v[30:31]
	v_add_f64 v[34:35], v[34:35], v[42:43]
	v_add_f64 v[30:31], v[30:31], v[40:41]
	v_mul_f64 v[40:41], v[24:25], s[42:43]
	v_add_f64 v[22:23], v[22:23], v[34:35]
	v_add_f64 v[20:21], v[20:21], v[30:31]
	v_fma_f64 v[42:43], v[26:27], s[12:13], -v[40:41]
	v_fma_f64 v[40:41], v[26:27], s[12:13], v[40:41]
	v_mul_f64 v[30:31], v[16:17], s[30:31]
	v_add_f64 v[14:15], v[14:15], v[22:23]
	v_add_f64 v[12:13], v[12:13], v[20:21]
	;; [unrolled: 1-line block ×4, first 2 shown]
	v_mul_f64 v[52:53], v[24:25], s[24:25]
	v_mul_f64 v[24:25], v[24:25], s[16:17]
	v_fma_f64 v[34:35], v[18:19], s[6:7], -v[30:31]
	v_fma_f64 v[30:31], v[18:19], s[6:7], v[30:31]
	v_mul_f64 v[22:23], v[8:9], s[24:25]
	v_add_f64 v[6:7], v[6:7], v[14:15]
	v_mul_f64 v[14:15], v[4:5], s[16:17]
	v_add_f64 v[0:1], v[0:1], v[12:13]
	v_fma_f64 v[54:55], v[26:27], s[10:11], -v[52:53]
	v_fma_f64 v[52:53], v[26:27], s[10:11], v[52:53]
	v_fma_f64 v[97:98], v[26:27], s[18:19], -v[24:25]
	v_fma_f64 v[24:25], v[26:27], s[18:19], v[24:25]
	v_mul_f64 v[26:27], v[16:17], s[34:35]
	v_add_f64 v[30:31], v[30:31], v[40:41]
	v_mul_f64 v[40:41], v[16:17], s[38:39]
	v_add_f64 v[34:35], v[34:35], v[42:43]
	v_add_f64 v[54:55], v[54:55], v[103:104]
	;; [unrolled: 1-line block ×5, first 2 shown]
	v_fma_f64 v[28:29], v[18:19], s[18:19], -v[26:27]
	v_fma_f64 v[26:27], v[18:19], s[18:19], v[26:27]
	v_fma_f64 v[42:43], v[18:19], s[20:21], -v[40:41]
	v_fma_f64 v[40:41], v[18:19], s[20:21], v[40:41]
	v_add_f64 v[28:29], v[28:29], v[38:39]
	v_add_f64 v[26:27], v[26:27], v[36:37]
	v_mul_f64 v[36:37], v[16:17], s[28:29]
	v_mul_f64 v[16:17], v[16:17], s[40:41]
	v_add_f64 v[42:43], v[42:43], v[54:55]
	v_add_f64 v[40:41], v[40:41], v[52:53]
	v_fma_f64 v[38:39], v[18:19], s[4:5], -v[36:37]
	v_fma_f64 v[36:37], v[18:19], s[4:5], v[36:37]
	v_add_f64 v[38:39], v[38:39], v[46:47]
	v_add_f64 v[36:37], v[36:37], v[44:45]
	v_fma_f64 v[44:45], v[18:19], s[10:11], -v[16:17]
	v_fma_f64 v[16:17], v[18:19], s[10:11], v[16:17]
	v_mul_f64 v[18:19], v[8:9], s[26:27]
	v_add_f64 v[44:45], v[44:45], v[97:98]
	v_add_f64 v[16:17], v[16:17], v[24:25]
	v_fma_f64 v[20:21], v[10:11], s[4:5], -v[18:19]
	v_fma_f64 v[18:19], v[10:11], s[4:5], v[18:19]
	v_fma_f64 v[24:25], v[10:11], s[10:11], -v[22:23]
	v_fma_f64 v[22:23], v[10:11], s[10:11], v[22:23]
	v_add_f64 v[20:21], v[20:21], v[28:29]
	v_add_f64 v[18:19], v[18:19], v[26:27]
	v_mul_f64 v[26:27], v[8:9], s[38:39]
	v_add_f64 v[22:23], v[22:23], v[30:31]
	v_mul_f64 v[30:31], v[8:9], s[30:31]
	v_mul_f64 v[8:9], v[8:9], s[14:15]
	v_add_f64 v[24:25], v[24:25], v[34:35]
	v_fma_f64 v[28:29], v[10:11], s[20:21], -v[26:27]
	v_fma_f64 v[26:27], v[10:11], s[20:21], v[26:27]
	v_fma_f64 v[34:35], v[10:11], s[6:7], -v[30:31]
	v_fma_f64 v[30:31], v[10:11], s[6:7], v[30:31]
	v_add_f64 v[28:29], v[28:29], v[38:39]
	v_add_f64 v[26:27], v[26:27], v[36:37]
	v_fma_f64 v[36:37], v[10:11], s[12:13], -v[8:9]
	v_fma_f64 v[8:9], v[10:11], s[12:13], v[8:9]
	v_mul_f64 v[10:11], v[4:5], s[30:31]
	v_add_f64 v[34:35], v[34:35], v[42:43]
	v_add_f64 v[30:31], v[30:31], v[40:41]
	;; [unrolled: 1-line block ×4, first 2 shown]
	v_fma_f64 v[12:13], v[2:3], s[6:7], -v[10:11]
	v_fma_f64 v[10:11], v[2:3], s[6:7], v[10:11]
	v_fma_f64 v[16:17], v[2:3], s[18:19], -v[14:15]
	v_fma_f64 v[14:15], v[2:3], s[18:19], v[14:15]
	v_add_f64 v[12:13], v[12:13], v[20:21]
	v_add_f64 v[10:11], v[10:11], v[18:19]
	v_mul_f64 v[18:19], v[4:5], s[40:41]
	v_add_f64 v[14:15], v[14:15], v[22:23]
	v_mul_f64 v[22:23], v[4:5], s[14:15]
	v_mul_f64 v[4:5], v[4:5], s[26:27]
	v_add_f64 v[16:17], v[16:17], v[24:25]
	v_fma_f64 v[20:21], v[2:3], s[10:11], -v[18:19]
	v_fma_f64 v[18:19], v[2:3], s[10:11], v[18:19]
	v_fma_f64 v[24:25], v[2:3], s[12:13], -v[22:23]
	v_fma_f64 v[22:23], v[2:3], s[12:13], v[22:23]
	v_add_f64 v[20:21], v[20:21], v[28:29]
	v_add_f64 v[18:19], v[18:19], v[26:27]
	v_fma_f64 v[26:27], v[2:3], s[4:5], -v[4:5]
	v_fma_f64 v[2:3], v[2:3], s[4:5], v[4:5]
	v_add_f64 v[24:25], v[24:25], v[34:35]
	v_add_f64 v[22:23], v[22:23], v[30:31]
	;; [unrolled: 1-line block ×4, first 2 shown]
	ds_write2_b64 v76, v[87:88], v[6:7] offset1:1
	ds_write2_b64 v76, v[12:13], v[16:17] offset0:2 offset1:3
	ds_write2_b64 v76, v[20:21], v[24:25] offset0:4 offset1:5
	;; [unrolled: 1-line block ×5, first 2 shown]
	ds_write_b64 v76, v[0:1] offset:96
	s_waitcnt lgkmcnt(0)
	; wave barrier
	s_waitcnt lgkmcnt(0)
	ds_read_b64 v[18:19], v91
	ds_read2_b64 v[4:7], v90 offset0:13 offset1:15
	ds_read2_b64 v[8:11], v90 offset0:17 offset1:19
	ds_read_b64 v[20:21], v92
	ds_read_b64 v[22:23], v93
	;; [unrolled: 1-line block ×4, first 2 shown]
	ds_read2_b64 v[12:15], v90 offset0:21 offset1:23
	ds_read_b64 v[28:29], v95
	v_mov_b32_e32 v16, 0
	v_mov_b32_e32 v17, 0
	s_and_saveexec_b64 s[4:5], s[0:1]
	s_cbranch_execz .LBB0_17
; %bb.16:
	ds_read2_b64 v[0:3], v72 offset0:12 offset1:25
	v_mov_b32_e32 v16, 12
	v_mov_b32_e32 v17, 0
.LBB0_17:
	s_or_b64 exec, exec, s[4:5]
	s_and_saveexec_b64 s[4:5], vcc
	s_cbranch_execz .LBB0_20
; %bb.18:
	v_mov_b32_e32 v72, 0
	v_lshlrev_b64 v[30:31], 4, v[71:72]
	v_mov_b32_e32 v76, v72
	v_mov_b32_e32 v17, s9
	v_add_co_u32_e32 v30, vcc, s8, v30
	v_lshlrev_b64 v[34:35], 4, v[75:76]
	v_addc_co_u32_e32 v31, vcc, v17, v31, vcc
	v_add_co_u32_e32 v42, vcc, s8, v34
	v_mov_b32_e32 v75, v72
	v_addc_co_u32_e32 v43, vcc, v17, v35, vcc
	global_load_dwordx4 v[34:37], v[30:31], off
	global_load_dwordx4 v[38:41], v[42:43], off
	v_lshlrev_b64 v[30:31], 4, v[74:75]
	v_mov_b32_e32 v74, v72
	v_add_co_u32_e32 v30, vcc, s8, v30
	v_lshlrev_b64 v[42:43], 4, v[73:74]
	v_addc_co_u32_e32 v31, vcc, v17, v31, vcc
	v_add_co_u32_e32 v46, vcc, s8, v42
	v_mov_b32_e32 v71, v72
	v_addc_co_u32_e32 v47, vcc, v17, v43, vcc
	global_load_dwordx4 v[42:45], v[30:31], off
	global_load_dwordx4 v[52:55], v[46:47], off
	v_lshlrev_b64 v[30:31], 4, v[70:71]
	v_add_co_u32_e32 v30, vcc, s8, v30
	v_addc_co_u32_e32 v31, vcc, v17, v31, vcc
	global_load_dwordx4 v[70:73], v[30:31], off
	global_load_dwordx4 v[90:93], v89, s[8:9]
	v_mov_b32_e32 v17, s3
	v_add_co_u32_e32 v30, vcc, s2, v68
	v_addc_co_u32_e32 v31, vcc, v17, v69, vcc
	v_add_co_u32_e32 v46, vcc, v30, v89
	v_addc_co_u32_e32 v47, vcc, 0, v31, vcc
	s_waitcnt vmcnt(5)
	v_mul_f64 v[68:69], v[66:67], v[36:37]
	s_waitcnt lgkmcnt(1)
	v_mul_f64 v[36:37], v[14:15], v[36:37]
	s_waitcnt vmcnt(4)
	v_mul_f64 v[74:75], v[64:65], v[40:41]
	v_mul_f64 v[40:41], v[12:13], v[40:41]
	v_fma_f64 v[14:15], v[14:15], v[34:35], -v[68:69]
	v_fma_f64 v[34:35], v[66:67], v[34:35], v[36:37]
	v_fma_f64 v[12:13], v[12:13], v[38:39], -v[74:75]
	v_fma_f64 v[36:37], v[64:65], v[38:39], v[40:41]
	s_waitcnt vmcnt(3)
	v_mul_f64 v[87:88], v[62:63], v[44:45]
	v_mul_f64 v[44:45], v[10:11], v[44:45]
	s_waitcnt vmcnt(2)
	v_mul_f64 v[94:95], v[60:61], v[54:55]
	v_mul_f64 v[54:55], v[8:9], v[54:55]
	;; [unrolled: 3-line block ×4, first 2 shown]
	v_fma_f64 v[38:39], v[10:11], v[42:43], -v[87:88]
	v_fma_f64 v[40:41], v[62:63], v[42:43], v[44:45]
	v_fma_f64 v[42:43], v[8:9], v[52:53], -v[94:95]
	v_fma_f64 v[44:45], v[60:61], v[52:53], v[54:55]
	;; [unrolled: 2-line block ×4, first 2 shown]
	s_waitcnt lgkmcnt(0)
	v_add_f64 v[6:7], v[28:29], -v[14:15]
	v_add_f64 v[4:5], v[85:86], -v[34:35]
	;; [unrolled: 1-line block ×12, first 2 shown]
	v_fma_f64 v[54:55], v[28:29], 2.0, -v[6:7]
	v_fma_f64 v[52:53], v[85:86], 2.0, -v[4:5]
	;; [unrolled: 1-line block ×12, first 2 shown]
	global_store_dwordx4 v[46:47], v[42:45], off offset:208
	global_store_dwordx4 v[46:47], v[38:41], off offset:240
	;; [unrolled: 1-line block ×6, first 2 shown]
	global_store_dwordx4 v[46:47], v[60:63], off
	global_store_dwordx4 v[46:47], v[18:21], off offset:32
	global_store_dwordx4 v[46:47], v[22:25], off offset:64
	;; [unrolled: 1-line block ×5, first 2 shown]
	s_and_b64 exec, exec, s[0:1]
	s_cbranch_execz .LBB0_20
; %bb.19:
	v_lshlrev_b32_e32 v4, 4, v16
	global_load_dwordx4 v[4:7], v4, s[8:9]
	s_waitcnt vmcnt(0)
	v_mul_f64 v[8:9], v[2:3], v[6:7]
	v_mul_f64 v[6:7], v[50:51], v[6:7]
	v_fma_f64 v[8:9], v[50:51], v[4:5], v[8:9]
	v_fma_f64 v[4:5], v[2:3], v[4:5], -v[6:7]
	v_add_f64 v[2:3], v[48:49], -v[8:9]
	v_add_f64 v[4:5], v[0:1], -v[4:5]
	v_fma_f64 v[6:7], v[48:49], 2.0, -v[2:3]
	v_fma_f64 v[8:9], v[0:1], 2.0, -v[4:5]
	global_store_dwordx4 v[30:31], v[6:9], off offset:192
	global_store_dwordx4 v[30:31], v[2:5], off offset:400
.LBB0_20:
	s_endpgm
	.section	.rodata,"a",@progbits
	.p2align	6, 0x0
	.amdhsa_kernel fft_rtc_back_len26_factors_13_2_wgs_64_tpt_2_halfLds_dp_ip_CI_unitstride_sbrr_dirReg
		.amdhsa_group_segment_fixed_size 0
		.amdhsa_private_segment_fixed_size 0
		.amdhsa_kernarg_size 88
		.amdhsa_user_sgpr_count 6
		.amdhsa_user_sgpr_private_segment_buffer 1
		.amdhsa_user_sgpr_dispatch_ptr 0
		.amdhsa_user_sgpr_queue_ptr 0
		.amdhsa_user_sgpr_kernarg_segment_ptr 1
		.amdhsa_user_sgpr_dispatch_id 0
		.amdhsa_user_sgpr_flat_scratch_init 0
		.amdhsa_user_sgpr_private_segment_size 0
		.amdhsa_uses_dynamic_stack 0
		.amdhsa_system_sgpr_private_segment_wavefront_offset 0
		.amdhsa_system_sgpr_workgroup_id_x 1
		.amdhsa_system_sgpr_workgroup_id_y 0
		.amdhsa_system_sgpr_workgroup_id_z 0
		.amdhsa_system_sgpr_workgroup_info 0
		.amdhsa_system_vgpr_workitem_id 0
		.amdhsa_next_free_vgpr 115
		.amdhsa_next_free_sgpr 46
		.amdhsa_reserve_vcc 1
		.amdhsa_reserve_flat_scratch 0
		.amdhsa_float_round_mode_32 0
		.amdhsa_float_round_mode_16_64 0
		.amdhsa_float_denorm_mode_32 3
		.amdhsa_float_denorm_mode_16_64 3
		.amdhsa_dx10_clamp 1
		.amdhsa_ieee_mode 1
		.amdhsa_fp16_overflow 0
		.amdhsa_exception_fp_ieee_invalid_op 0
		.amdhsa_exception_fp_denorm_src 0
		.amdhsa_exception_fp_ieee_div_zero 0
		.amdhsa_exception_fp_ieee_overflow 0
		.amdhsa_exception_fp_ieee_underflow 0
		.amdhsa_exception_fp_ieee_inexact 0
		.amdhsa_exception_int_div_zero 0
	.end_amdhsa_kernel
	.text
.Lfunc_end0:
	.size	fft_rtc_back_len26_factors_13_2_wgs_64_tpt_2_halfLds_dp_ip_CI_unitstride_sbrr_dirReg, .Lfunc_end0-fft_rtc_back_len26_factors_13_2_wgs_64_tpt_2_halfLds_dp_ip_CI_unitstride_sbrr_dirReg
                                        ; -- End function
	.section	.AMDGPU.csdata,"",@progbits
; Kernel info:
; codeLenInByte = 6068
; NumSgprs: 50
; NumVgprs: 115
; ScratchSize: 0
; MemoryBound: 1
; FloatMode: 240
; IeeeMode: 1
; LDSByteSize: 0 bytes/workgroup (compile time only)
; SGPRBlocks: 6
; VGPRBlocks: 28
; NumSGPRsForWavesPerEU: 50
; NumVGPRsForWavesPerEU: 115
; Occupancy: 2
; WaveLimiterHint : 1
; COMPUTE_PGM_RSRC2:SCRATCH_EN: 0
; COMPUTE_PGM_RSRC2:USER_SGPR: 6
; COMPUTE_PGM_RSRC2:TRAP_HANDLER: 0
; COMPUTE_PGM_RSRC2:TGID_X_EN: 1
; COMPUTE_PGM_RSRC2:TGID_Y_EN: 0
; COMPUTE_PGM_RSRC2:TGID_Z_EN: 0
; COMPUTE_PGM_RSRC2:TIDIG_COMP_CNT: 0
	.type	__hip_cuid_bcf42346cb849916,@object ; @__hip_cuid_bcf42346cb849916
	.section	.bss,"aw",@nobits
	.globl	__hip_cuid_bcf42346cb849916
__hip_cuid_bcf42346cb849916:
	.byte	0                               ; 0x0
	.size	__hip_cuid_bcf42346cb849916, 1

	.ident	"AMD clang version 19.0.0git (https://github.com/RadeonOpenCompute/llvm-project roc-6.4.0 25133 c7fe45cf4b819c5991fe208aaa96edf142730f1d)"
	.section	".note.GNU-stack","",@progbits
	.addrsig
	.addrsig_sym __hip_cuid_bcf42346cb849916
	.amdgpu_metadata
---
amdhsa.kernels:
  - .args:
      - .actual_access:  read_only
        .address_space:  global
        .offset:         0
        .size:           8
        .value_kind:     global_buffer
      - .offset:         8
        .size:           8
        .value_kind:     by_value
      - .actual_access:  read_only
        .address_space:  global
        .offset:         16
        .size:           8
        .value_kind:     global_buffer
      - .actual_access:  read_only
        .address_space:  global
        .offset:         24
        .size:           8
        .value_kind:     global_buffer
      - .offset:         32
        .size:           8
        .value_kind:     by_value
      - .actual_access:  read_only
        .address_space:  global
        .offset:         40
        .size:           8
        .value_kind:     global_buffer
      - .actual_access:  read_only
        .address_space:  global
        .offset:         48
        .size:           8
        .value_kind:     global_buffer
      - .offset:         56
        .size:           4
        .value_kind:     by_value
      - .actual_access:  read_only
        .address_space:  global
        .offset:         64
        .size:           8
        .value_kind:     global_buffer
      - .actual_access:  read_only
        .address_space:  global
        .offset:         72
        .size:           8
        .value_kind:     global_buffer
      - .address_space:  global
        .offset:         80
        .size:           8
        .value_kind:     global_buffer
    .group_segment_fixed_size: 0
    .kernarg_segment_align: 8
    .kernarg_segment_size: 88
    .language:       OpenCL C
    .language_version:
      - 2
      - 0
    .max_flat_workgroup_size: 64
    .name:           fft_rtc_back_len26_factors_13_2_wgs_64_tpt_2_halfLds_dp_ip_CI_unitstride_sbrr_dirReg
    .private_segment_fixed_size: 0
    .sgpr_count:     50
    .sgpr_spill_count: 0
    .symbol:         fft_rtc_back_len26_factors_13_2_wgs_64_tpt_2_halfLds_dp_ip_CI_unitstride_sbrr_dirReg.kd
    .uniform_work_group_size: 1
    .uses_dynamic_stack: false
    .vgpr_count:     115
    .vgpr_spill_count: 0
    .wavefront_size: 64
amdhsa.target:   amdgcn-amd-amdhsa--gfx906
amdhsa.version:
  - 1
  - 2
...

	.end_amdgpu_metadata
